;; amdgpu-corpus repo=ROCm/rocFFT kind=compiled arch=gfx1201 opt=O3
	.text
	.amdgcn_target "amdgcn-amd-amdhsa--gfx1201"
	.amdhsa_code_object_version 6
	.protected	fft_rtc_back_len200_factors_10_10_2_wgs_60_tpt_20_halfLds_dp_ip_CI_sbrr_dirReg ; -- Begin function fft_rtc_back_len200_factors_10_10_2_wgs_60_tpt_20_halfLds_dp_ip_CI_sbrr_dirReg
	.globl	fft_rtc_back_len200_factors_10_10_2_wgs_60_tpt_20_halfLds_dp_ip_CI_sbrr_dirReg
	.p2align	8
	.type	fft_rtc_back_len200_factors_10_10_2_wgs_60_tpt_20_halfLds_dp_ip_CI_sbrr_dirReg,@function
fft_rtc_back_len200_factors_10_10_2_wgs_60_tpt_20_halfLds_dp_ip_CI_sbrr_dirReg: ; @fft_rtc_back_len200_factors_10_10_2_wgs_60_tpt_20_halfLds_dp_ip_CI_sbrr_dirReg
; %bb.0:
	s_clause 0x1
	s_load_b64 s[12:13], s[0:1], 0x18
	s_load_b128 s[4:7], s[0:1], 0x0
	v_mul_u32_u24_e32 v1, 0xccd, v0
	v_mov_b32_e32 v3, 0
	s_load_b64 s[10:11], s[0:1], 0x50
	s_wait_kmcnt 0x0
	s_load_b64 s[8:9], s[12:13], 0x0
	v_lshrrev_b32_e32 v1, 16, v1
	v_cmp_lt_u64_e64 s2, s[6:7], 2
	s_delay_alu instid0(VALU_DEP_2) | instskip(SKIP_4) | instid1(VALU_DEP_1)
	v_mad_co_u64_u32 v[43:44], null, ttmp9, 3, v[1:2]
	v_mov_b32_e32 v1, 0
	v_mov_b32_e32 v2, 0
	;; [unrolled: 1-line block ×3, first 2 shown]
	s_and_b32 vcc_lo, exec_lo, s2
	v_dual_mov_b32 v7, v43 :: v_dual_mov_b32 v8, v44
	s_cbranch_vccnz .LBB0_8
; %bb.1:
	s_load_b64 s[2:3], s[0:1], 0x10
	v_mov_b32_e32 v1, 0
	v_dual_mov_b32 v2, 0 :: v_dual_mov_b32 v5, v43
	v_mov_b32_e32 v6, v44
	s_add_nc_u64 s[14:15], s[12:13], 8
	s_mov_b64 s[16:17], 1
	s_wait_kmcnt 0x0
	s_add_nc_u64 s[18:19], s[2:3], 8
	s_mov_b32 s3, 0
.LBB0_2:                                ; =>This Inner Loop Header: Depth=1
	s_load_b64 s[20:21], s[18:19], 0x0
                                        ; implicit-def: $vgpr7_vgpr8
	s_mov_b32 s2, exec_lo
	s_wait_kmcnt 0x0
	v_or_b32_e32 v4, s21, v6
	s_delay_alu instid0(VALU_DEP_1)
	v_cmpx_ne_u64_e32 0, v[3:4]
	s_wait_alu 0xfffe
	s_xor_b32 s22, exec_lo, s2
	s_cbranch_execz .LBB0_4
; %bb.3:                                ;   in Loop: Header=BB0_2 Depth=1
	s_cvt_f32_u32 s2, s20
	s_cvt_f32_u32 s23, s21
	s_sub_nc_u64 s[26:27], 0, s[20:21]
	s_wait_alu 0xfffe
	s_delay_alu instid0(SALU_CYCLE_1) | instskip(SKIP_1) | instid1(SALU_CYCLE_2)
	s_fmamk_f32 s2, s23, 0x4f800000, s2
	s_wait_alu 0xfffe
	v_s_rcp_f32 s2, s2
	s_delay_alu instid0(TRANS32_DEP_1) | instskip(SKIP_1) | instid1(SALU_CYCLE_2)
	s_mul_f32 s2, s2, 0x5f7ffffc
	s_wait_alu 0xfffe
	s_mul_f32 s23, s2, 0x2f800000
	s_wait_alu 0xfffe
	s_delay_alu instid0(SALU_CYCLE_2) | instskip(SKIP_1) | instid1(SALU_CYCLE_2)
	s_trunc_f32 s23, s23
	s_wait_alu 0xfffe
	s_fmamk_f32 s2, s23, 0xcf800000, s2
	s_cvt_u32_f32 s25, s23
	s_wait_alu 0xfffe
	s_delay_alu instid0(SALU_CYCLE_1) | instskip(SKIP_1) | instid1(SALU_CYCLE_2)
	s_cvt_u32_f32 s24, s2
	s_wait_alu 0xfffe
	s_mul_u64 s[28:29], s[26:27], s[24:25]
	s_wait_alu 0xfffe
	s_mul_hi_u32 s31, s24, s29
	s_mul_i32 s30, s24, s29
	s_mul_hi_u32 s2, s24, s28
	s_mul_i32 s33, s25, s28
	s_wait_alu 0xfffe
	s_add_nc_u64 s[30:31], s[2:3], s[30:31]
	s_mul_hi_u32 s23, s25, s28
	s_mul_hi_u32 s34, s25, s29
	s_add_co_u32 s2, s30, s33
	s_wait_alu 0xfffe
	s_add_co_ci_u32 s2, s31, s23
	s_mul_i32 s28, s25, s29
	s_add_co_ci_u32 s29, s34, 0
	s_wait_alu 0xfffe
	s_add_nc_u64 s[28:29], s[2:3], s[28:29]
	s_wait_alu 0xfffe
	v_add_co_u32 v4, s2, s24, s28
	s_delay_alu instid0(VALU_DEP_1) | instskip(SKIP_1) | instid1(VALU_DEP_1)
	s_cmp_lg_u32 s2, 0
	s_add_co_ci_u32 s25, s25, s29
	v_readfirstlane_b32 s24, v4
	s_wait_alu 0xfffe
	s_delay_alu instid0(VALU_DEP_1)
	s_mul_u64 s[26:27], s[26:27], s[24:25]
	s_wait_alu 0xfffe
	s_mul_hi_u32 s29, s24, s27
	s_mul_i32 s28, s24, s27
	s_mul_hi_u32 s2, s24, s26
	s_mul_i32 s30, s25, s26
	s_wait_alu 0xfffe
	s_add_nc_u64 s[28:29], s[2:3], s[28:29]
	s_mul_hi_u32 s23, s25, s26
	s_mul_hi_u32 s24, s25, s27
	s_wait_alu 0xfffe
	s_add_co_u32 s2, s28, s30
	s_add_co_ci_u32 s2, s29, s23
	s_mul_i32 s26, s25, s27
	s_add_co_ci_u32 s27, s24, 0
	s_wait_alu 0xfffe
	s_add_nc_u64 s[26:27], s[2:3], s[26:27]
	s_wait_alu 0xfffe
	v_add_co_u32 v4, s2, v4, s26
	s_delay_alu instid0(VALU_DEP_1) | instskip(SKIP_1) | instid1(VALU_DEP_1)
	s_cmp_lg_u32 s2, 0
	s_add_co_ci_u32 s2, s25, s27
	v_mul_hi_u32 v13, v5, v4
	s_wait_alu 0xfffe
	v_mad_co_u64_u32 v[7:8], null, v5, s2, 0
	v_mad_co_u64_u32 v[9:10], null, v6, v4, 0
	;; [unrolled: 1-line block ×3, first 2 shown]
	s_delay_alu instid0(VALU_DEP_3) | instskip(SKIP_1) | instid1(VALU_DEP_4)
	v_add_co_u32 v4, vcc_lo, v13, v7
	s_wait_alu 0xfffd
	v_add_co_ci_u32_e32 v7, vcc_lo, 0, v8, vcc_lo
	s_delay_alu instid0(VALU_DEP_2) | instskip(SKIP_1) | instid1(VALU_DEP_2)
	v_add_co_u32 v4, vcc_lo, v4, v9
	s_wait_alu 0xfffd
	v_add_co_ci_u32_e32 v4, vcc_lo, v7, v10, vcc_lo
	s_wait_alu 0xfffd
	v_add_co_ci_u32_e32 v7, vcc_lo, 0, v12, vcc_lo
	s_delay_alu instid0(VALU_DEP_2) | instskip(SKIP_1) | instid1(VALU_DEP_2)
	v_add_co_u32 v4, vcc_lo, v4, v11
	s_wait_alu 0xfffd
	v_add_co_ci_u32_e32 v9, vcc_lo, 0, v7, vcc_lo
	s_delay_alu instid0(VALU_DEP_2) | instskip(SKIP_1) | instid1(VALU_DEP_3)
	v_mul_lo_u32 v10, s21, v4
	v_mad_co_u64_u32 v[7:8], null, s20, v4, 0
	v_mul_lo_u32 v11, s20, v9
	s_delay_alu instid0(VALU_DEP_2) | instskip(NEXT) | instid1(VALU_DEP_2)
	v_sub_co_u32 v7, vcc_lo, v5, v7
	v_add3_u32 v8, v8, v11, v10
	s_delay_alu instid0(VALU_DEP_1) | instskip(SKIP_1) | instid1(VALU_DEP_1)
	v_sub_nc_u32_e32 v10, v6, v8
	s_wait_alu 0xfffd
	v_subrev_co_ci_u32_e64 v10, s2, s21, v10, vcc_lo
	v_add_co_u32 v11, s2, v4, 2
	s_wait_alu 0xf1ff
	v_add_co_ci_u32_e64 v12, s2, 0, v9, s2
	v_sub_co_u32 v13, s2, v7, s20
	v_sub_co_ci_u32_e32 v8, vcc_lo, v6, v8, vcc_lo
	s_wait_alu 0xf1ff
	v_subrev_co_ci_u32_e64 v10, s2, 0, v10, s2
	s_delay_alu instid0(VALU_DEP_3) | instskip(NEXT) | instid1(VALU_DEP_3)
	v_cmp_le_u32_e32 vcc_lo, s20, v13
	v_cmp_eq_u32_e64 s2, s21, v8
	s_wait_alu 0xfffd
	v_cndmask_b32_e64 v13, 0, -1, vcc_lo
	v_cmp_le_u32_e32 vcc_lo, s21, v10
	s_wait_alu 0xfffd
	v_cndmask_b32_e64 v14, 0, -1, vcc_lo
	v_cmp_le_u32_e32 vcc_lo, s20, v7
	;; [unrolled: 3-line block ×3, first 2 shown]
	s_wait_alu 0xfffd
	v_cndmask_b32_e64 v15, 0, -1, vcc_lo
	v_cmp_eq_u32_e32 vcc_lo, s21, v10
	s_wait_alu 0xf1ff
	s_delay_alu instid0(VALU_DEP_2)
	v_cndmask_b32_e64 v7, v15, v7, s2
	s_wait_alu 0xfffd
	v_cndmask_b32_e32 v10, v14, v13, vcc_lo
	v_add_co_u32 v13, vcc_lo, v4, 1
	s_wait_alu 0xfffd
	v_add_co_ci_u32_e32 v14, vcc_lo, 0, v9, vcc_lo
	s_delay_alu instid0(VALU_DEP_3) | instskip(SKIP_2) | instid1(VALU_DEP_3)
	v_cmp_ne_u32_e32 vcc_lo, 0, v10
	s_wait_alu 0xfffd
	v_cndmask_b32_e32 v10, v13, v11, vcc_lo
	v_cndmask_b32_e32 v8, v14, v12, vcc_lo
	v_cmp_ne_u32_e32 vcc_lo, 0, v7
	s_wait_alu 0xfffd
	s_delay_alu instid0(VALU_DEP_2)
	v_dual_cndmask_b32 v7, v4, v10 :: v_dual_cndmask_b32 v8, v9, v8
.LBB0_4:                                ;   in Loop: Header=BB0_2 Depth=1
	s_wait_alu 0xfffe
	s_and_not1_saveexec_b32 s2, s22
	s_cbranch_execz .LBB0_6
; %bb.5:                                ;   in Loop: Header=BB0_2 Depth=1
	v_cvt_f32_u32_e32 v4, s20
	s_sub_co_i32 s22, 0, s20
	s_delay_alu instid0(VALU_DEP_1) | instskip(NEXT) | instid1(TRANS32_DEP_1)
	v_rcp_iflag_f32_e32 v4, v4
	v_mul_f32_e32 v4, 0x4f7ffffe, v4
	s_delay_alu instid0(VALU_DEP_1) | instskip(SKIP_1) | instid1(VALU_DEP_1)
	v_cvt_u32_f32_e32 v4, v4
	s_wait_alu 0xfffe
	v_mul_lo_u32 v7, s22, v4
	s_delay_alu instid0(VALU_DEP_1) | instskip(NEXT) | instid1(VALU_DEP_1)
	v_mul_hi_u32 v7, v4, v7
	v_add_nc_u32_e32 v4, v4, v7
	s_delay_alu instid0(VALU_DEP_1) | instskip(NEXT) | instid1(VALU_DEP_1)
	v_mul_hi_u32 v4, v5, v4
	v_mul_lo_u32 v7, v4, s20
	v_add_nc_u32_e32 v8, 1, v4
	s_delay_alu instid0(VALU_DEP_2) | instskip(NEXT) | instid1(VALU_DEP_1)
	v_sub_nc_u32_e32 v7, v5, v7
	v_subrev_nc_u32_e32 v9, s20, v7
	v_cmp_le_u32_e32 vcc_lo, s20, v7
	s_wait_alu 0xfffd
	s_delay_alu instid0(VALU_DEP_2) | instskip(NEXT) | instid1(VALU_DEP_1)
	v_dual_cndmask_b32 v7, v7, v9 :: v_dual_cndmask_b32 v4, v4, v8
	v_cmp_le_u32_e32 vcc_lo, s20, v7
	s_delay_alu instid0(VALU_DEP_2) | instskip(SKIP_1) | instid1(VALU_DEP_1)
	v_add_nc_u32_e32 v8, 1, v4
	s_wait_alu 0xfffd
	v_dual_cndmask_b32 v7, v4, v8 :: v_dual_mov_b32 v8, v3
.LBB0_6:                                ;   in Loop: Header=BB0_2 Depth=1
	s_wait_alu 0xfffe
	s_or_b32 exec_lo, exec_lo, s2
	s_load_b64 s[22:23], s[14:15], 0x0
	s_delay_alu instid0(VALU_DEP_1)
	v_mul_lo_u32 v4, v8, s20
	v_mul_lo_u32 v11, v7, s21
	v_mad_co_u64_u32 v[9:10], null, v7, s20, 0
	s_add_nc_u64 s[16:17], s[16:17], 1
	s_add_nc_u64 s[14:15], s[14:15], 8
	s_wait_alu 0xfffe
	v_cmp_ge_u64_e64 s2, s[16:17], s[6:7]
	s_add_nc_u64 s[18:19], s[18:19], 8
	s_delay_alu instid0(VALU_DEP_2) | instskip(NEXT) | instid1(VALU_DEP_3)
	v_add3_u32 v4, v10, v11, v4
	v_sub_co_u32 v5, vcc_lo, v5, v9
	s_wait_alu 0xfffd
	s_delay_alu instid0(VALU_DEP_2) | instskip(SKIP_3) | instid1(VALU_DEP_2)
	v_sub_co_ci_u32_e32 v4, vcc_lo, v6, v4, vcc_lo
	s_and_b32 vcc_lo, exec_lo, s2
	s_wait_kmcnt 0x0
	v_mul_lo_u32 v6, s23, v5
	v_mul_lo_u32 v4, s22, v4
	v_mad_co_u64_u32 v[1:2], null, s22, v5, v[1:2]
	s_delay_alu instid0(VALU_DEP_1)
	v_add3_u32 v2, v6, v2, v4
	s_wait_alu 0xfffe
	s_cbranch_vccnz .LBB0_8
; %bb.7:                                ;   in Loop: Header=BB0_2 Depth=1
	v_dual_mov_b32 v5, v7 :: v_dual_mov_b32 v6, v8
	s_branch .LBB0_2
.LBB0_8:
	s_lshl_b64 s[2:3], s[6:7], 3
	v_mul_hi_u32 v3, 0xccccccd, v0
	s_wait_alu 0xfffe
	s_add_nc_u64 s[2:3], s[12:13], s[2:3]
	s_load_b64 s[0:1], s[0:1], 0x20
	s_load_b64 s[2:3], s[2:3], 0x0
                                        ; implicit-def: $vgpr49
                                        ; implicit-def: $vgpr51
                                        ; implicit-def: $vgpr47
                                        ; implicit-def: $vgpr52
	s_delay_alu instid0(VALU_DEP_1) | instskip(NEXT) | instid1(VALU_DEP_1)
	v_mul_u32_u24_e32 v3, 20, v3
	v_sub_nc_u32_e32 v42, v0, v3
	s_delay_alu instid0(VALU_DEP_1)
	v_add_nc_u32_e32 v54, 20, v42
	v_add_nc_u32_e32 v44, 40, v42
	;; [unrolled: 1-line block ×4, first 2 shown]
	s_wait_kmcnt 0x0
	v_cmp_gt_u64_e32 vcc_lo, s[0:1], v[7:8]
	v_mul_lo_u32 v3, s2, v8
	v_mul_lo_u32 v4, s3, v7
	v_mad_co_u64_u32 v[0:1], null, s2, v7, v[1:2]
	v_cmp_le_u64_e64 s0, s[0:1], v[7:8]
	s_delay_alu instid0(VALU_DEP_2) | instskip(NEXT) | instid1(VALU_DEP_2)
	v_add3_u32 v1, v4, v1, v3
	s_and_saveexec_b32 s1, s0
	s_wait_alu 0xfffe
	s_xor_b32 s0, exec_lo, s1
; %bb.9:
	v_add_nc_u32_e32 v49, 20, v42
	v_add_nc_u32_e32 v51, 40, v42
	;; [unrolled: 1-line block ×4, first 2 shown]
; %bb.10:
	s_wait_alu 0xfffe
	s_or_saveexec_b32 s1, s0
	v_lshlrev_b64_e32 v[45:46], 4, v[0:1]
	v_add_nc_u32_e32 v56, 0x64, v42
	v_add_nc_u32_e32 v55, 0x78, v42
                                        ; implicit-def: $vgpr14_vgpr15
                                        ; implicit-def: $vgpr10_vgpr11
                                        ; implicit-def: $vgpr18_vgpr19
                                        ; implicit-def: $vgpr22_vgpr23
                                        ; implicit-def: $vgpr34_vgpr35
                                        ; implicit-def: $vgpr38_vgpr39
                                        ; implicit-def: $vgpr26_vgpr27
                                        ; implicit-def: $vgpr30_vgpr31
                                        ; implicit-def: $vgpr2_vgpr3
                                        ; implicit-def: $vgpr6_vgpr7
	s_wait_alu 0xfffe
	s_xor_b32 exec_lo, exec_lo, s1
	s_cbranch_execz .LBB0_12
; %bb.11:
	v_mad_co_u64_u32 v[0:1], null, s8, v42, 0
	v_mad_co_u64_u32 v[2:3], null, s8, v54, 0
	;; [unrolled: 1-line block ×5, first 2 shown]
	s_delay_alu instid0(VALU_DEP_4) | instskip(SKIP_3) | instid1(VALU_DEP_3)
	v_mad_co_u64_u32 v[4:5], null, s9, v42, v[1:2]
	v_mov_b32_e32 v1, v3
	v_mad_co_u64_u32 v[14:15], null, s8, v56, 0
	v_add_co_u32 v34, s0, s10, v45
	v_mad_co_u64_u32 v[5:6], null, s9, v54, v[1:2]
	v_dual_mov_b32 v1, v4 :: v_dual_mov_b32 v6, v11
	v_mov_b32_e32 v4, v9
	v_mad_co_u64_u32 v[16:17], null, s9, v40, v[13:14]
	v_mov_b32_e32 v13, v15
	v_dual_mov_b32 v3, v5 :: v_dual_add_nc_u32 v22, 0x8c, v42
	s_delay_alu instid0(VALU_DEP_4)
	v_mad_co_u64_u32 v[4:5], null, s9, v44, v[4:5]
	v_mad_co_u64_u32 v[5:6], null, s9, v41, v[6:7]
	v_lshlrev_b64_e32 v[0:1], 4, v[0:1]
	v_mad_co_u64_u32 v[17:18], null, s8, v55, 0
	s_wait_alu 0xf1ff
	v_add_co_ci_u32_e64 v35, s0, s11, v46, s0
	v_mov_b32_e32 v9, v4
	v_lshlrev_b64_e32 v[2:3], 4, v[2:3]
	v_mad_co_u64_u32 v[19:20], null, s9, v56, v[13:14]
	v_mad_co_u64_u32 v[20:21], null, s8, v22, 0
	v_mov_b32_e32 v11, v5
	v_add_co_u32 v0, s0, v34, v0
	v_lshlrev_b64_e32 v[8:9], 4, v[8:9]
	s_wait_alu 0xf1ff
	v_add_co_ci_u32_e64 v1, s0, v35, v1, s0
	v_add_co_u32 v2, s0, v34, v2
	v_lshlrev_b64_e32 v[10:11], 4, v[10:11]
	s_wait_alu 0xf1ff
	v_add_co_ci_u32_e64 v3, s0, v35, v3, s0
	v_add_co_u32 v8, s0, v34, v8
	s_wait_alu 0xf1ff
	v_add_co_ci_u32_e64 v9, s0, v35, v9, s0
	v_add_co_u32 v10, s0, v34, v10
	v_dual_mov_b32 v13, v16 :: v_dual_mov_b32 v52, v40
	s_wait_alu 0xf1ff
	v_add_co_ci_u32_e64 v11, s0, v35, v11, s0
	s_clause 0x3
	global_load_b128 v[4:7], v[0:1], off
	global_load_b128 v[0:3], v[2:3], off
	global_load_b128 v[28:31], v[8:9], off
	global_load_b128 v[24:27], v[10:11], off
	v_lshlrev_b64_e32 v[9:10], 4, v[12:13]
	v_mov_b32_e32 v8, v18
	v_or_b32_e32 v16, 0xa0, v42
	v_mov_b32_e32 v51, v44
	v_mov_b32_e32 v49, v54
	s_delay_alu instid0(VALU_DEP_4) | instskip(SKIP_4) | instid1(VALU_DEP_4)
	v_mad_co_u64_u32 v[11:12], null, s9, v55, v[8:9]
	v_mov_b32_e32 v8, v21
	v_mad_co_u64_u32 v[12:13], null, s8, v16, 0
	v_mov_b32_e32 v15, v19
	v_add_nc_u32_e32 v19, 0xb4, v42
	v_mad_co_u64_u32 v[21:22], null, s9, v22, v[8:9]
	v_add_co_u32 v8, s0, v34, v9
	s_delay_alu instid0(VALU_DEP_3)
	v_mad_co_u64_u32 v[22:23], null, s8, v19, 0
	s_wait_alu 0xf1ff
	v_add_co_ci_u32_e64 v9, s0, v35, v10, s0
	v_mov_b32_e32 v10, v13
	v_mov_b32_e32 v18, v11
	v_lshlrev_b64_e32 v[13:14], 4, v[14:15]
	s_delay_alu instid0(VALU_DEP_3) | instskip(SKIP_1) | instid1(VALU_DEP_4)
	v_mad_co_u64_u32 v[10:11], null, s9, v16, v[10:11]
	v_mov_b32_e32 v11, v23
	v_lshlrev_b64_e32 v[17:18], 4, v[17:18]
	s_delay_alu instid0(VALU_DEP_4)
	v_add_co_u32 v15, s0, v34, v13
	s_wait_alu 0xf1ff
	v_add_co_ci_u32_e64 v16, s0, v35, v14, s0
	v_mad_co_u64_u32 v[32:33], null, s9, v19, v[11:12]
	v_lshlrev_b64_e32 v[19:20], 4, v[20:21]
	v_mov_b32_e32 v13, v10
	v_add_co_u32 v10, s0, v34, v17
	s_wait_alu 0xf1ff
	v_add_co_ci_u32_e64 v11, s0, v35, v18, s0
	v_mov_b32_e32 v23, v32
	v_lshlrev_b64_e32 v[12:13], 4, v[12:13]
	v_add_co_u32 v17, s0, v34, v19
	s_wait_alu 0xf1ff
	v_add_co_ci_u32_e64 v18, s0, v35, v20, s0
	v_lshlrev_b64_e32 v[19:20], 4, v[22:23]
	s_delay_alu instid0(VALU_DEP_4) | instskip(SKIP_2) | instid1(VALU_DEP_3)
	v_add_co_u32 v12, s0, v34, v12
	s_wait_alu 0xf1ff
	v_add_co_ci_u32_e64 v13, s0, v35, v13, s0
	v_add_co_u32 v47, s0, v34, v19
	s_wait_alu 0xf1ff
	v_add_co_ci_u32_e64 v48, s0, v35, v20, s0
	s_clause 0x5
	global_load_b128 v[36:39], v[8:9], off
	global_load_b128 v[32:35], v[15:16], off
	;; [unrolled: 1-line block ×6, first 2 shown]
	v_mov_b32_e32 v47, v41
.LBB0_12:
	s_or_b32 exec_lo, exec_lo, s1
	s_wait_loadcnt 0x7
	v_add_f64_e32 v[57:58], v[28:29], v[4:5]
	v_add_f64_e32 v[59:60], v[30:31], v[6:7]
	s_wait_loadcnt 0x3
	v_add_f64_e32 v[61:62], v[20:21], v[36:37]
	s_wait_loadcnt 0x1
	v_add_f64_e32 v[63:64], v[8:9], v[28:29]
	v_add_f64_e32 v[65:66], v[22:23], v[38:39]
	;; [unrolled: 1-line block ×4, first 2 shown]
	s_wait_loadcnt 0x0
	v_add_f64_e32 v[71:72], v[12:13], v[24:25]
	v_add_f64_e32 v[73:74], v[18:19], v[34:35]
	;; [unrolled: 1-line block ×3, first 2 shown]
	v_add_f64_e64 v[77:78], v[24:25], -v[32:33]
	v_add_f64_e64 v[79:80], v[12:13], -v[16:17]
	;; [unrolled: 1-line block ×9, first 2 shown]
	v_add_f64_e32 v[93:94], v[24:25], v[0:1]
	v_add_f64_e64 v[95:96], v[26:27], -v[14:15]
	s_mov_b32 s14, 0x134454ff
	s_mov_b32 s15, 0xbfee6f0e
	;; [unrolled: 1-line block ×7, first 2 shown]
	s_wait_alu 0xfffe
	s_mov_b32 s6, s16
	v_add_f64_e64 v[28:29], v[28:29], -v[8:9]
	s_mov_b32 s12, 0x372fe950
	s_mov_b32 s13, 0x3fd3c6ef
	;; [unrolled: 1-line block ×7, first 2 shown]
	s_wait_alu 0xfffe
	s_mov_b32 s20, s22
	v_add_f64_e32 v[36:37], v[36:37], v[57:58]
	v_add_f64_e32 v[38:39], v[38:39], v[59:60]
	v_add_f64_e64 v[57:58], v[32:33], -v[24:25]
	v_add_f64_e64 v[59:60], v[16:17], -v[12:13]
	v_fma_f64 v[61:62], v[61:62], -0.5, v[4:5]
	v_fma_f64 v[4:5], v[63:64], -0.5, v[4:5]
	;; [unrolled: 1-line block ×4, first 2 shown]
	v_add_f64_e32 v[65:66], v[26:27], v[2:3]
	v_add_f64_e64 v[24:25], v[24:25], -v[12:13]
	v_fma_f64 v[67:68], v[69:70], -0.5, v[0:1]
	v_fma_f64 v[0:1], v[71:72], -0.5, v[0:1]
	v_fma_f64 v[69:70], v[73:74], -0.5, v[2:3]
	v_fma_f64 v[2:3], v[75:76], -0.5, v[2:3]
	v_add_f64_e64 v[71:72], v[26:27], -v[34:35]
	v_add_f64_e64 v[73:74], v[14:15], -v[18:19]
	;; [unrolled: 1-line block ×4, first 2 shown]
	v_add_f64_e32 v[77:78], v[79:80], v[77:78]
	v_add_f64_e64 v[79:80], v[32:33], -v[16:17]
	v_add_f64_e32 v[32:33], v[32:33], v[93:94]
	v_add_f64_e64 v[93:94], v[22:23], -v[10:11]
	v_cmp_gt_u32_e64 s0, 10, v42
	v_add_f64_e32 v[57:58], v[59:60], v[57:58]
	v_fma_f64 v[59:60], v[24:25], s[2:3], v[69:70]
	v_fma_f64 v[69:70], v[24:25], s[14:15], v[69:70]
	v_add_f64_e32 v[71:72], v[73:74], v[71:72]
	v_add_f64_e32 v[26:27], v[75:76], v[26:27]
	v_add_f64_e64 v[75:76], v[34:35], -v[18:19]
	v_fma_f64 v[73:74], v[79:80], s[14:15], v[2:3]
	v_fma_f64 v[2:3], v[79:80], s[2:3], v[2:3]
	v_add_f64_e32 v[34:35], v[34:35], v[65:66]
	v_fma_f64 v[65:66], v[28:29], s[2:3], v[63:64]
	v_fma_f64 v[63:64], v[28:29], s[14:15], v[63:64]
	v_add_f64_e32 v[16:17], v[16:17], v[32:33]
	v_add_f64_e32 v[30:31], v[93:94], v[30:31]
	v_fma_f64 v[59:60], v[79:80], s[6:7], v[59:60]
	v_fma_f64 v[69:70], v[79:80], s[16:17], v[69:70]
	;; [unrolled: 1-line block ×8, first 2 shown]
	v_add_f64_e32 v[18:19], v[18:19], v[34:35]
	v_fma_f64 v[34:35], v[89:90], s[6:7], v[65:66]
	v_add_f64_e32 v[12:13], v[12:13], v[16:17]
	v_mul_hi_u32 v16, 0xaaaaaaab, v43
	v_fma_f64 v[59:60], v[71:72], s[12:13], v[59:60]
	v_fma_f64 v[69:70], v[71:72], s[12:13], v[69:70]
	;; [unrolled: 1-line block ×4, first 2 shown]
	v_add_f64_e64 v[75:76], v[8:9], -v[20:21]
	v_fma_f64 v[71:72], v[81:82], s[14:15], v[61:62]
	v_fma_f64 v[61:62], v[81:82], s[2:3], v[61:62]
	v_fma_f64 v[73:74], v[26:27], s[12:13], v[73:74]
	v_fma_f64 v[2:3], v[26:27], s[12:13], v[2:3]
	v_fma_f64 v[24:25], v[95:96], s[16:17], v[24:25]
	v_fma_f64 v[0:1], v[95:96], s[6:7], v[0:1]
	v_add_f64_e64 v[95:96], v[20:21], -v[8:9]
	v_fma_f64 v[26:27], v[83:84], s[2:3], v[4:5]
	v_fma_f64 v[4:5], v[83:84], s[14:15], v[4:5]
	v_add_f64_e32 v[20:21], v[20:21], v[36:37]
	v_fma_f64 v[79:80], v[77:78], s[12:13], v[79:80]
	v_add_f64_e32 v[75:76], v[75:76], v[85:86]
	v_add_f64_e64 v[85:86], v[10:11], -v[22:23]
	v_fma_f64 v[32:33], v[83:84], s[16:17], v[71:72]
	v_fma_f64 v[36:37], v[83:84], s[6:7], v[61:62]
	;; [unrolled: 1-line block ×5, first 2 shown]
	v_add_f64_e32 v[87:88], v[95:96], v[87:88]
	v_fma_f64 v[95:96], v[89:90], s[14:15], v[6:7]
	v_fma_f64 v[6:7], v[89:90], s[2:3], v[6:7]
	;; [unrolled: 1-line block ×4, first 2 shown]
	v_mul_f64_e32 v[57:58], s[16:17], v[59:60]
	v_mul_f64_e32 v[67:68], s[14:15], v[73:74]
	;; [unrolled: 1-line block ×3, first 2 shown]
	v_add_f64_e32 v[22:23], v[22:23], v[38:39]
	v_fma_f64 v[38:39], v[89:90], s[16:17], v[63:64]
	v_mul_f64_e32 v[2:3], s[18:19], v[2:3]
	v_mul_f64_e32 v[77:78], s[16:17], v[69:70]
	s_wait_alu 0xfffe
	v_mul_f64_e32 v[69:70], s[20:21], v[69:70]
	v_add_f64_e32 v[8:9], v[8:9], v[20:21]
	v_add_f64_e32 v[81:82], v[85:86], v[91:92]
	v_fma_f64 v[20:21], v[75:76], s[12:13], v[32:33]
	v_fma_f64 v[32:33], v[75:76], s[12:13], v[36:37]
	v_mul_f64_e32 v[65:66], s[2:3], v[24:25]
	v_fma_f64 v[63:64], v[28:29], s[6:7], v[95:96]
	v_fma_f64 v[6:7], v[28:29], s[16:17], v[6:7]
	v_mul_f64_e32 v[28:29], s[6:7], v[79:80]
	v_fma_f64 v[26:27], v[87:88], s[12:13], v[26:27]
	v_fma_f64 v[4:5], v[87:88], s[12:13], v[4:5]
	;; [unrolled: 1-line block ×5, first 2 shown]
	v_add_f64_e32 v[22:23], v[10:11], v[22:23]
	v_add_f64_e32 v[71:72], v[14:15], v[18:19]
	v_fma_f64 v[67:68], v[61:62], s[20:21], v[77:78]
	v_fma_f64 v[69:70], v[61:62], s[6:7], v[69:70]
	;; [unrolled: 1-line block ×6, first 2 shown]
	v_lshrrev_b32_e32 v1, 1, v16
	v_fma_f64 v[63:64], v[30:31], s[12:13], v[63:64]
	v_fma_f64 v[79:80], v[30:31], s[12:13], v[6:7]
	;; [unrolled: 1-line block ×3, first 2 shown]
	v_add_nc_u32_e32 v0, -10, v42
	v_lshl_add_u32 v6, v1, 1, v1
	v_add_f64_e32 v[2:3], v[20:21], v[36:37]
	v_add_f64_e64 v[17:18], v[20:21], -v[36:37]
	v_add_f64_e32 v[15:16], v[4:5], v[57:58]
	s_wait_alu 0xf1ff
	v_cndmask_b32_e64 v39, v0, v42, s0
	v_add_f64_e32 v[0:1], v[12:13], v[8:9]
	v_add_f64_e64 v[11:12], v[8:9], -v[12:13]
	v_add_f64_e32 v[13:14], v[26:27], v[24:25]
	v_add_f64_e64 v[19:20], v[26:27], -v[24:25]
	v_add_f64_e64 v[27:28], v[4:5], -v[57:58]
	v_sub_nc_u32_e32 v4, v43, v6
	v_mul_i32_i24_e32 v7, 9, v39
	v_add_f64_e32 v[9:10], v[32:33], v[67:68]
	v_add_f64_e64 v[29:30], v[32:33], -v[67:68]
	v_add_f64_e64 v[33:34], v[22:23], -v[71:72]
	v_mul_u32_u24_e32 v4, 0xc8, v4
	v_mov_b32_e32 v8, 0
	v_mul_u32_u24_e32 v21, 10, v42
	v_lshlrev_b32_e32 v39, 3, v39
	s_delay_alu instid0(VALU_DEP_4) | instskip(NEXT) | instid1(VALU_DEP_4)
	v_lshlrev_b32_e32 v43, 3, v4
	v_lshlrev_b64_e32 v[24:25], 4, v[7:8]
	v_add_f64_e32 v[4:5], v[71:72], v[22:23]
	s_delay_alu instid0(VALU_DEP_3) | instskip(SKIP_1) | instid1(VALU_DEP_2)
	v_add_nc_u32_e32 v26, 0, v43
	v_add_f64_e32 v[31:32], v[77:78], v[69:70]
	v_lshl_add_u32 v48, v21, 3, v26
	v_lshl_add_u32 v21, v42, 3, v26
	;; [unrolled: 1-line block ×4, first 2 shown]
	v_add_f64_e32 v[35:36], v[63:64], v[65:66]
	v_add_f64_e32 v[37:38], v[79:80], v[73:74]
	;; [unrolled: 1-line block ×3, first 2 shown]
	v_add_f64_e64 v[57:58], v[75:76], -v[59:60]
	v_add_f64_e64 v[59:60], v[63:64], -v[65:66]
	;; [unrolled: 1-line block ×4, first 2 shown]
	v_add_co_u32 v65, s0, s4, v24
	s_wait_alu 0xf1ff
	v_add_co_ci_u32_e64 v66, s0, s5, v25, s0
	v_lshl_add_u32 v24, v47, 3, v26
	v_lshl_add_u32 v25, v52, 3, v26
	v_mad_i32_i24 v26, 0xffffffb8, v42, v48
	ds_store_b128 v48, v[0:3]
	ds_store_b128 v48, v[13:16] offset:16
	ds_store_b128 v48, v[9:12] offset:32
	;; [unrolled: 1-line block ×4, first 2 shown]
	global_wb scope:SCOPE_SE
	s_wait_dscnt 0x0
	s_barrier_signal -1
	s_barrier_wait -1
	global_inv scope:SCOPE_SE
	ds_load_b64 v[73:74], v21
	ds_load_b64 v[75:76], v22
	;; [unrolled: 1-line block ×4, first 2 shown]
	ds_load_2addr_b64 v[0:3], v26 offset0:100 offset1:120
	ds_load_2addr_b64 v[9:12], v26 offset0:140 offset1:160
	ds_load_b64 v[81:82], v25
	ds_load_b64 v[83:84], v26 offset:1440
	global_wb scope:SCOPE_SE
	s_wait_dscnt 0x0
	s_barrier_signal -1
	s_barrier_wait -1
	global_inv scope:SCOPE_SE
	ds_store_b128 v48, v[4:7]
	ds_store_b128 v48, v[35:38] offset:16
	ds_store_b128 v48, v[31:34] offset:32
	;; [unrolled: 1-line block ×4, first 2 shown]
	global_wb scope:SCOPE_SE
	s_wait_dscnt 0x0
	s_barrier_signal -1
	s_barrier_wait -1
	global_inv scope:SCOPE_SE
	s_clause 0x8
	global_load_b128 v[4:7], v[65:66], off offset:64
	global_load_b128 v[13:16], v[65:66], off offset:80
	;; [unrolled: 1-line block ×8, first 2 shown]
	global_load_b128 v[65:68], v[65:66], off
	ds_load_2addr_b64 v[69:72], v26 offset0:100 offset1:120
	ds_load_b64 v[89:90], v23
	ds_load_b64 v[91:92], v24
	v_cmp_lt_u32_e64 s0, 9, v42
	s_wait_alu 0xf1ff
	s_delay_alu instid0(VALU_DEP_1) | instskip(NEXT) | instid1(VALU_DEP_1)
	v_cndmask_b32_e64 v48, 0, 0x320, s0
	v_add_nc_u32_e32 v48, 0, v48
	s_delay_alu instid0(VALU_DEP_1)
	v_add3_u32 v39, v48, v39, v43
	s_wait_loadcnt_dscnt 0x802
	v_mul_f64_e32 v[85:86], v[69:70], v[6:7]
	v_mul_f64_e32 v[6:7], v[0:1], v[6:7]
	s_wait_loadcnt 0x7
	v_mul_f64_e32 v[87:88], v[71:72], v[15:16]
	v_mul_f64_e32 v[15:16], v[2:3], v[15:16]
	s_wait_loadcnt_dscnt 0x200
	v_mul_f64_e32 v[93:94], v[91:92], v[59:60]
	v_fma_f64 v[85:86], v[0:1], v[4:5], v[85:86]
	v_fma_f64 v[4:5], v[69:70], v[4:5], -v[6:7]
	v_mul_f64_e32 v[6:7], v[89:90], v[19:20]
	v_mul_f64_e32 v[19:20], v[77:78], v[19:20]
	v_fma_f64 v[69:70], v[2:3], v[13:14], v[87:88]
	ds_load_b64 v[87:88], v25
	v_fma_f64 v[13:14], v[71:72], v[13:14], -v[15:16]
	ds_load_2addr_b64 v[0:3], v26 offset0:140 offset1:160
	ds_load_b64 v[15:16], v26 offset:1440
	s_wait_dscnt 0x2
	v_mul_f64_e32 v[71:72], v[87:88], v[29:30]
	v_mul_f64_e32 v[29:30], v[81:82], v[29:30]
	v_fma_f64 v[6:7], v[77:78], v[17:18], v[6:7]
	v_fma_f64 v[17:18], v[89:90], v[17:18], -v[19:20]
	s_wait_dscnt 0x1
	v_mul_f64_e32 v[19:20], v[2:3], v[37:38]
	v_mul_f64_e32 v[77:78], v[0:1], v[33:34]
	ds_load_b64 v[89:90], v22
	v_mul_f64_e32 v[33:34], v[9:10], v[33:34]
	v_fma_f64 v[71:72], v[81:82], v[27:28], v[71:72]
	s_wait_loadcnt_dscnt 0x101
	v_mul_f64_e32 v[81:82], v[15:16], v[63:64]
	v_fma_f64 v[27:28], v[87:88], v[27:28], -v[29:30]
	v_mul_f64_e32 v[29:30], v[11:12], v[37:38]
	v_mul_f64_e32 v[37:38], v[79:80], v[59:60]
	s_wait_loadcnt_dscnt 0x0
	v_mul_f64_e32 v[59:60], v[89:90], v[67:68]
	v_mul_f64_e32 v[67:68], v[75:76], v[67:68]
	v_fma_f64 v[11:12], v[11:12], v[35:36], v[19:20]
	v_mul_f64_e32 v[19:20], v[83:84], v[63:64]
	v_fma_f64 v[9:10], v[9:10], v[31:32], v[77:78]
	v_fma_f64 v[63:64], v[79:80], v[57:58], v[93:94]
	v_fma_f64 v[0:1], v[0:1], v[31:32], -v[33:34]
	v_add_f64_e64 v[33:34], v[6:7], -v[71:72]
	v_fma_f64 v[77:78], v[83:84], v[61:62], v[81:82]
	v_fma_f64 v[2:3], v[2:3], v[35:36], -v[29:30]
	v_fma_f64 v[29:30], v[91:92], v[57:58], -v[37:38]
	v_add_f64_e64 v[57:58], v[71:72], -v[6:7]
	v_add_f64_e64 v[35:36], v[11:12], -v[69:70]
	v_fma_f64 v[15:16], v[15:16], v[61:62], -v[19:20]
	v_fma_f64 v[19:20], v[75:76], v[65:66], v[59:60]
	v_add_f64_e32 v[31:32], v[85:86], v[9:10]
	v_add_f64_e64 v[59:60], v[69:70], -v[11:12]
	v_fma_f64 v[61:62], v[89:90], v[65:66], -v[67:68]
	v_add_f64_e64 v[65:66], v[17:18], -v[27:28]
	v_add_f64_e64 v[75:76], v[27:28], -v[17:18]
	v_add_f64_e32 v[81:82], v[4:5], v[0:1]
	v_add_f64_e64 v[91:92], v[63:64], -v[85:86]
	v_add_f64_e64 v[95:96], v[85:86], -v[63:64]
	v_add_f64_e32 v[37:38], v[63:64], v[77:78]
	v_add_f64_e64 v[93:94], v[77:78], -v[9:10]
	v_add_f64_e64 v[67:68], v[2:3], -v[13:14]
	;; [unrolled: 1-line block ×3, first 2 shown]
	v_add_f64_e32 v[33:34], v[33:34], v[35:36]
	v_add_f64_e32 v[83:84], v[29:30], v[15:16]
	;; [unrolled: 1-line block ×3, first 2 shown]
	v_add_f64_e64 v[89:90], v[29:30], -v[15:16]
	v_fma_f64 v[31:32], v[31:32], -0.5, v[19:20]
	v_add_f64_e64 v[35:36], v[9:10], -v[77:78]
	v_add_f64_e32 v[57:58], v[57:58], v[59:60]
	v_add_f64_e32 v[59:60], v[61:62], v[29:30]
	v_add_f64_e64 v[63:64], v[63:64], -v[77:78]
	v_fma_f64 v[19:20], v[37:38], -0.5, v[19:20]
	v_add_f64_e64 v[37:38], v[4:5], -v[0:1]
	v_add_f64_e32 v[65:66], v[65:66], v[67:68]
	v_add_f64_e64 v[67:68], v[29:30], -v[4:5]
	v_add_f64_e32 v[75:76], v[75:76], v[79:80]
	v_fma_f64 v[79:80], v[81:82], -0.5, v[61:62]
	v_add_f64_e64 v[81:82], v[15:16], -v[0:1]
	v_add_f64_e64 v[29:30], v[4:5], -v[29:30]
	v_add_f64_e32 v[91:92], v[91:92], v[93:94]
	v_fma_f64 v[61:62], v[83:84], -0.5, v[61:62]
	v_add_f64_e64 v[83:84], v[85:86], -v[9:10]
	v_add_f64_e32 v[85:86], v[87:88], v[85:86]
	v_add_f64_e64 v[87:88], v[0:1], -v[15:16]
	v_fma_f64 v[93:94], v[89:90], s[14:15], v[31:32]
	v_fma_f64 v[31:32], v[89:90], s[2:3], v[31:32]
	v_add_f64_e32 v[35:36], v[95:96], v[35:36]
	v_add_f64_e32 v[4:5], v[59:60], v[4:5]
	v_fma_f64 v[95:96], v[37:38], s[2:3], v[19:20]
	v_fma_f64 v[19:20], v[37:38], s[14:15], v[19:20]
	;; [unrolled: 1-line block ×4, first 2 shown]
	v_add_f64_e32 v[67:68], v[67:68], v[81:82]
	v_fma_f64 v[81:82], v[83:84], s[14:15], v[61:62]
	v_fma_f64 v[61:62], v[83:84], s[2:3], v[61:62]
	v_add_f64_e32 v[29:30], v[29:30], v[87:88]
	v_add_f64_e32 v[87:88], v[27:28], v[13:14]
	v_fma_f64 v[93:94], v[37:38], s[16:17], v[93:94]
	v_fma_f64 v[31:32], v[37:38], s[6:7], v[31:32]
	v_add_f64_e32 v[37:38], v[17:18], v[2:3]
	v_add_f64_e32 v[9:10], v[85:86], v[9:10]
	;; [unrolled: 1-line block ×3, first 2 shown]
	v_fma_f64 v[95:96], v[89:90], s[16:17], v[95:96]
	v_fma_f64 v[19:20], v[89:90], s[6:7], v[19:20]
	ds_load_b64 v[89:90], v21
	global_wb scope:SCOPE_SE
	s_wait_dscnt 0x0
	v_fma_f64 v[59:60], v[83:84], s[6:7], v[59:60]
	v_fma_f64 v[79:80], v[83:84], s[16:17], v[79:80]
	v_add_f64_e32 v[83:84], v[71:72], v[69:70]
	s_barrier_signal -1
	s_barrier_wait -1
	global_inv scope:SCOPE_SE
	v_fma_f64 v[81:82], v[63:64], s[6:7], v[81:82]
	v_fma_f64 v[61:62], v[63:64], s[16:17], v[61:62]
	v_add_f64_e32 v[63:64], v[6:7], v[11:12]
	v_fma_f64 v[87:88], v[87:88], -0.5, v[89:90]
	v_fma_f64 v[37:38], v[37:38], -0.5, v[89:90]
	v_add_f64_e32 v[89:90], v[89:90], v[17:18]
	v_add_f64_e64 v[17:18], v[17:18], -v[2:3]
	v_fma_f64 v[31:32], v[91:92], s[12:13], v[31:32]
	v_add_f64_e32 v[9:10], v[9:10], v[77:78]
	v_add_f64_e32 v[0:1], v[0:1], v[15:16]
	v_fma_f64 v[19:20], v[35:36], s[12:13], v[19:20]
	v_fma_f64 v[59:60], v[67:68], s[12:13], v[59:60]
	;; [unrolled: 1-line block ×3, first 2 shown]
	v_fma_f64 v[83:84], v[83:84], -0.5, v[73:74]
	v_fma_f64 v[81:82], v[29:30], s[12:13], v[81:82]
	v_fma_f64 v[29:30], v[29:30], s[12:13], v[61:62]
	v_fma_f64 v[63:64], v[63:64], -0.5, v[73:74]
	v_add_f64_e32 v[73:74], v[73:74], v[6:7]
	v_add_f64_e64 v[6:7], v[6:7], -v[11:12]
	v_add_f64_e32 v[89:90], v[89:90], v[27:28]
	v_add_f64_e64 v[27:28], v[27:28], -v[13:14]
	v_fma_f64 v[79:80], v[17:18], s[14:15], v[83:84]
	v_fma_f64 v[83:84], v[17:18], s[2:3], v[83:84]
	v_add_f64_e32 v[73:74], v[73:74], v[71:72]
	v_add_f64_e64 v[71:72], v[71:72], -v[69:70]
	v_add_f64_e32 v[13:14], v[89:90], v[13:14]
	v_fma_f64 v[61:62], v[27:28], s[2:3], v[63:64]
	v_fma_f64 v[63:64], v[27:28], s[14:15], v[63:64]
	;; [unrolled: 1-line block ×5, first 2 shown]
	v_mul_f64_e32 v[35:36], s[16:17], v[59:60]
	v_mul_f64_e32 v[95:96], s[16:17], v[67:68]
	v_mul_f64_e32 v[67:68], s[20:21], v[67:68]
	v_add_f64_e32 v[69:70], v[73:74], v[69:70]
	v_fma_f64 v[73:74], v[6:7], s[2:3], v[87:88]
	v_fma_f64 v[85:86], v[71:72], s[14:15], v[37:38]
	;; [unrolled: 1-line block ×7, first 2 shown]
	v_mul_f64_e32 v[91:92], s[14:15], v[81:82]
	v_mul_f64_e32 v[93:94], s[14:15], v[29:30]
	;; [unrolled: 1-line block ×3, first 2 shown]
	v_add_f64_e32 v[2:3], v[13:14], v[2:3]
	v_fma_f64 v[27:28], v[33:34], s[12:13], v[27:28]
	v_fma_f64 v[77:78], v[31:32], s[20:21], v[95:96]
	v_add_f64_e32 v[11:12], v[69:70], v[11:12]
	v_fma_f64 v[4:5], v[71:72], s[6:7], v[73:74]
	v_fma_f64 v[73:74], v[6:7], s[6:7], v[85:86]
	;; [unrolled: 1-line block ×3, first 2 shown]
	v_mul_f64_e32 v[37:38], s[22:23], v[59:60]
	v_mul_f64_e32 v[59:60], s[12:13], v[81:82]
	v_fma_f64 v[71:72], v[71:72], s[16:17], v[87:88]
	v_fma_f64 v[69:70], v[33:34], s[12:13], v[79:80]
	;; [unrolled: 1-line block ×9, first 2 shown]
	v_add_f64_e32 v[67:68], v[27:28], v[77:78]
	v_add_f64_e64 v[27:28], v[27:28], -v[77:78]
	v_add_f64_e32 v[31:32], v[11:12], v[9:10]
	v_fma_f64 v[4:5], v[65:66], s[12:13], v[4:5]
	v_fma_f64 v[15:16], v[75:76], s[12:13], v[73:74]
	v_fma_f64 v[6:7], v[75:76], s[12:13], v[6:7]
	v_fma_f64 v[37:38], v[63:64], s[6:7], v[37:38]
	v_fma_f64 v[59:60], v[83:84], s[2:3], v[59:60]
	v_fma_f64 v[13:14], v[65:66], s[12:13], v[71:72]
	v_add_f64_e64 v[9:10], v[11:12], -v[9:10]
	v_add_f64_e32 v[11:12], v[69:70], v[35:36]
	v_add_f64_e64 v[35:36], v[69:70], -v[35:36]
	v_add_f64_e32 v[63:64], v[33:34], v[57:58]
	v_add_f64_e32 v[65:66], v[17:18], v[61:62]
	v_add_f64_e64 v[33:34], v[33:34], -v[57:58]
	v_add_f64_e64 v[17:18], v[17:18], -v[61:62]
	v_add_f64_e32 v[57:58], v[2:3], v[0:1]
	v_add_f64_e64 v[61:62], v[2:3], -v[0:1]
	ds_store_2addr_b64 v39, v[31:32], v[11:12] offset1:10
	ds_store_2addr_b64 v39, v[63:64], v[65:66] offset0:20 offset1:30
	ds_store_2addr_b64 v39, v[67:68], v[9:10] offset0:40 offset1:50
	ds_store_2addr_b64 v39, v[35:36], v[33:34] offset0:60 offset1:70
	ds_store_2addr_b64 v39, v[17:18], v[27:28] offset0:80 offset1:90
	v_add_f64_e32 v[69:70], v[4:5], v[37:38]
	v_add_f64_e32 v[71:72], v[15:16], v[59:60]
	;; [unrolled: 1-line block ×4, first 2 shown]
	v_add_f64_e64 v[37:38], v[4:5], -v[37:38]
	v_add_f64_e64 v[59:60], v[15:16], -v[59:60]
	;; [unrolled: 1-line block ×4, first 2 shown]
	global_wb scope:SCOPE_SE
	s_wait_dscnt 0x0
	s_barrier_signal -1
	s_barrier_wait -1
	global_inv scope:SCOPE_SE
	ds_load_2addr_b64 v[4:7], v26 offset0:100 offset1:120
	ds_load_2addr_b64 v[0:3], v26 offset0:140 offset1:160
	ds_load_b64 v[17:18], v21
	ds_load_b64 v[15:16], v22
	ds_load_b64 v[13:14], v23
	ds_load_b64 v[11:12], v24
	ds_load_b64 v[9:10], v25
	ds_load_b64 v[19:20], v26 offset:1440
	global_wb scope:SCOPE_SE
	s_wait_dscnt 0x0
	s_barrier_signal -1
	s_barrier_wait -1
	global_inv scope:SCOPE_SE
	ds_store_2addr_b64 v39, v[57:58], v[69:70] offset1:10
	ds_store_2addr_b64 v39, v[71:72], v[73:74] offset0:20 offset1:30
	ds_store_2addr_b64 v39, v[75:76], v[61:62] offset0:40 offset1:50
	ds_store_2addr_b64 v39, v[37:38], v[59:60] offset0:60 offset1:70
	ds_store_2addr_b64 v39, v[77:78], v[29:30] offset0:80 offset1:90
	global_wb scope:SCOPE_SE
	s_wait_dscnt 0x0
	s_barrier_signal -1
	s_barrier_wait -1
	global_inv scope:SCOPE_SE
	s_and_saveexec_b32 s0, vcc_lo
	s_cbranch_execz .LBB0_14
; %bb.13:
	v_dual_mov_b32 v53, v8 :: v_dual_mov_b32 v50, v8
	v_mov_b32_e32 v43, v8
	v_mad_co_u64_u32 v[75:76], null, s8, v54, 0
	s_delay_alu instid0(VALU_DEP_3)
	v_lshlrev_b64_e32 v[27:28], 4, v[52:53]
	v_mov_b32_e32 v52, v8
	v_lshlrev_b64_e32 v[33:34], 4, v[49:50]
	v_mov_b32_e32 v48, v8
	v_lshlrev_b64_e32 v[35:36], 4, v[42:43]
	v_mad_co_u64_u32 v[73:74], null, s8, v56, 0
	v_mov_b32_e32 v39, v76
	v_add_co_u32 v27, vcc_lo, s4, v27
	s_wait_alu 0xfffd
	v_add_co_ci_u32_e32 v28, vcc_lo, s5, v28, vcc_lo
	v_lshlrev_b64_e32 v[31:32], 4, v[51:52]
	v_lshlrev_b64_e32 v[51:52], 4, v[47:48]
	v_mad_co_u64_u32 v[71:72], null, s8, v42, 0
	global_load_b128 v[27:30], v[27:28], off offset:1440
	v_mad_co_u64_u32 v[77:78], null, s8, v55, 0
	v_add_co_u32 v31, vcc_lo, s4, v31
	s_wait_alu 0xfffd
	v_add_co_ci_u32_e32 v32, vcc_lo, s5, v32, vcc_lo
	v_add_co_u32 v37, vcc_lo, s4, v33
	s_wait_alu 0xfffd
	v_add_co_ci_u32_e32 v38, vcc_lo, s5, v34, vcc_lo
	;; [unrolled: 3-line block ×4, first 2 shown]
	s_clause 0x2
	global_load_b128 v[31:34], v[31:32], off offset:1440
	global_load_b128 v[35:38], v[37:38], off offset:1440
	;; [unrolled: 1-line block ×3, first 2 shown]
	ds_load_2addr_b64 v[61:64], v26 offset0:140 offset1:160
	ds_load_2addr_b64 v[65:68], v26 offset0:100 offset1:120
	global_load_b128 v[57:60], v[51:52], off offset:1440
	ds_load_b64 v[51:52], v26 offset:1440
	v_mul_hi_u32 v53, 0x51eb851f, v44
	v_mul_hi_u32 v79, 0x51eb851f, v41
	v_mov_b32_e32 v26, v74
	v_dual_mov_b32 v8, v72 :: v_dual_mov_b32 v43, v78
	v_add_co_u32 v89, vcc_lo, s10, v45
	s_wait_alu 0xfffd
	v_add_co_ci_u32_e32 v90, vcc_lo, s11, v46, vcc_lo
	v_lshrrev_b32_e32 v72, 5, v53
	v_lshrrev_b32_e32 v74, 5, v79
	v_mad_co_u64_u32 v[53:54], null, s9, v54, v[39:40]
	v_mad_co_u64_u32 v[45:46], null, s9, v42, v[8:9]
	;; [unrolled: 1-line block ×3, first 2 shown]
	v_mul_hi_u32 v8, 0x51eb851f, v40
	s_delay_alu instid0(VALU_DEP_3) | instskip(SKIP_1) | instid1(VALU_DEP_3)
	v_mad_co_u64_u32 v[43:44], null, 0x64, v72, v[44:45]
	v_mov_b32_e32 v72, v45
	v_lshrrev_b32_e32 v8, 5, v8
	s_delay_alu instid0(VALU_DEP_3) | instskip(NEXT) | instid1(VALU_DEP_2)
	v_mad_co_u64_u32 v[87:88], null, s8, v43, 0
	v_mad_co_u64_u32 v[39:40], null, 0x64, v8, v[40:41]
	s_delay_alu instid0(VALU_DEP_2)
	v_mov_b32_e32 v8, v88
	s_wait_loadcnt 0x4
	v_mul_f64_e32 v[69:70], v[19:20], v[29:30]
	s_wait_dscnt 0x0
	v_mul_f64_e32 v[29:30], v[51:52], v[29:30]
	v_mad_co_u64_u32 v[78:79], null, s9, v56, v[26:27]
	s_wait_loadcnt 0x3
	v_mul_f64_e32 v[54:55], v[0:1], v[33:34]
	s_wait_loadcnt 0x2
	v_mul_f64_e32 v[79:80], v[6:7], v[37:38]
	;; [unrolled: 2-line block ×3, first 2 shown]
	v_mul_f64_e32 v[37:38], v[67:68], v[37:38]
	v_mul_f64_e32 v[49:50], v[65:66], v[49:50]
	v_fma_f64 v[51:52], v[51:52], v[27:28], -v[69:70]
	v_fma_f64 v[19:20], v[19:20], v[27:28], v[29:30]
	v_mul_f64_e32 v[26:27], v[61:62], v[33:34]
	s_wait_loadcnt 0x0
	v_mul_f64_e32 v[28:29], v[2:3], v[59:60]
	v_mul_f64_e32 v[33:34], v[63:64], v[59:60]
	v_mad_co_u64_u32 v[59:60], null, 0x64, v74, v[41:42]
	ds_load_b64 v[40:41], v25
	ds_load_b64 v[44:45], v24
	;; [unrolled: 1-line block ×5, first 2 shown]
	v_fma_f64 v[23:24], v[67:68], v[35:36], -v[79:80]
	v_fma_f64 v[21:22], v[65:66], v[47:48], -v[81:82]
	v_fma_f64 v[35:36], v[6:7], v[35:36], v[37:38]
	v_fma_f64 v[37:38], v[61:62], v[31:32], -v[54:55]
	v_fma_f64 v[4:5], v[4:5], v[47:48], v[49:50]
	v_mad_co_u64_u32 v[46:47], null, s8, v59, 0
	v_add_nc_u32_e32 v79, 0x64, v59
	v_mad_co_u64_u32 v[48:49], null, s8, v39, 0
	v_add_nc_u32_e32 v80, 0x64, v39
	v_add_nc_u32_e32 v68, 0x64, v43
	s_delay_alu instid0(VALU_DEP_4)
	v_mad_co_u64_u32 v[60:61], null, s8, v79, 0
	v_fma_f64 v[30:31], v[0:1], v[31:32], v[26:27]
	v_fma_f64 v[27:28], v[63:64], v[57:58], -v[28:29]
	v_fma_f64 v[32:33], v[2:3], v[57:58], v[33:34]
	v_mov_b32_e32 v34, v47
	v_mad_co_u64_u32 v[62:63], null, s8, v80, 0
	v_mov_b32_e32 v74, v78
	v_mov_b32_e32 v78, v42
	;; [unrolled: 1-line block ×3, first 2 shown]
	v_mad_co_u64_u32 v[57:58], null, s8, v68, 0
	s_wait_dscnt 0x0
	v_add_f64_e64 v[6:7], v[85:86], -v[21:22]
	v_add_f64_e64 v[21:22], v[83:84], -v[23:24]
	;; [unrolled: 1-line block ×7, first 2 shown]
	v_mad_co_u64_u32 v[31:32], null, s9, v43, v[8:9]
	v_mad_co_u64_u32 v[32:33], null, s9, v59, v[34:35]
	v_mov_b32_e32 v33, v61
	v_lshlrev_b64_e32 v[0:1], 4, v[71:72]
	v_mov_b32_e32 v8, v58
	v_mov_b32_e32 v76, v53
	v_dual_mov_b32 v88, v31 :: v_dual_mov_b32 v47, v32
	s_delay_alu instid0(VALU_DEP_4)
	v_add_co_u32 v64, vcc_lo, v89, v0
	s_wait_alu 0xfffd
	v_add_co_ci_u32_e32 v65, vcc_lo, v90, v1, vcc_lo
	v_add_f64_e64 v[0:1], v[9:10], -v[19:20]
	v_add_f64_e64 v[19:20], v[15:16], -v[35:36]
	v_mad_co_u64_u32 v[34:35], null, s9, v39, v[42:43]
	v_mov_b32_e32 v35, v63
	v_lshlrev_b64_e32 v[2:3], 4, v[73:74]
	v_mad_co_u64_u32 v[36:37], null, s9, v68, v[8:9]
	v_fma_f64 v[31:32], v[17:18], 2.0, -v[4:5]
	v_fma_f64 v[17:18], v[83:84], 2.0, -v[21:22]
	v_mad_co_u64_u32 v[37:38], null, s9, v79, v[33:34]
	v_add_co_u32 v66, vcc_lo, v89, v2
	s_wait_alu 0xfffd
	v_add_co_ci_u32_e32 v67, vcc_lo, v90, v3, vcc_lo
	v_add_f64_e64 v[2:3], v[40:41], -v[51:52]
	v_mad_co_u64_u32 v[38:39], null, s9, v80, v[35:36]
	v_mov_b32_e32 v49, v34
	v_fma_f64 v[33:34], v[85:86], 2.0, -v[6:7]
	v_dual_mov_b32 v58, v36 :: v_dual_mov_b32 v61, v37
	v_fma_f64 v[35:36], v[13:14], 2.0, -v[23:24]
	v_lshlrev_b64_e32 v[53:54], 4, v[75:76]
	v_mov_b32_e32 v63, v38
	v_fma_f64 v[37:38], v[69:70], 2.0, -v[25:26]
	v_fma_f64 v[13:14], v[44:45], 2.0, -v[29:30]
	;; [unrolled: 1-line block ×3, first 2 shown]
	v_lshlrev_b64_e32 v[55:56], 4, v[77:78]
	v_add_co_u32 v50, vcc_lo, v89, v53
	s_wait_alu 0xfffd
	v_add_co_ci_u32_e32 v51, vcc_lo, v90, v54, vcc_lo
	v_lshlrev_b64_e32 v[43:44], 4, v[48:49]
	s_delay_alu instid0(VALU_DEP_4) | instskip(SKIP_4) | instid1(VALU_DEP_3)
	v_add_co_u32 v52, vcc_lo, v89, v55
	v_lshlrev_b64_e32 v[54:55], 4, v[87:88]
	s_wait_alu 0xfffd
	v_add_co_ci_u32_e32 v53, vcc_lo, v90, v56, vcc_lo
	v_fma_f64 v[15:16], v[15:16], 2.0, -v[19:20]
	v_add_co_u32 v54, vcc_lo, v89, v54
	s_wait_alu 0xfffd
	v_add_co_ci_u32_e32 v55, vcc_lo, v90, v55, vcc_lo
	v_fma_f64 v[41:42], v[40:41], 2.0, -v[2:3]
	v_fma_f64 v[39:40], v[9:10], 2.0, -v[0:1]
	v_lshlrev_b64_e32 v[8:9], 4, v[46:47]
	v_lshlrev_b64_e32 v[45:46], 4, v[57:58]
	;; [unrolled: 1-line block ×4, first 2 shown]
	s_delay_alu instid0(VALU_DEP_4)
	v_add_co_u32 v8, vcc_lo, v89, v8
	s_wait_alu 0xfffd
	v_add_co_ci_u32_e32 v9, vcc_lo, v90, v9, vcc_lo
	v_add_co_u32 v43, vcc_lo, v89, v43
	s_wait_alu 0xfffd
	v_add_co_ci_u32_e32 v44, vcc_lo, v90, v44, vcc_lo
	;; [unrolled: 3-line block ×5, first 2 shown]
	s_clause 0x9
	global_store_b128 v[64:65], v[31:34], off
	global_store_b128 v[66:67], v[4:7], off
	;; [unrolled: 1-line block ×10, first 2 shown]
.LBB0_14:
	s_nop 0
	s_sendmsg sendmsg(MSG_DEALLOC_VGPRS)
	s_endpgm
	.section	.rodata,"a",@progbits
	.p2align	6, 0x0
	.amdhsa_kernel fft_rtc_back_len200_factors_10_10_2_wgs_60_tpt_20_halfLds_dp_ip_CI_sbrr_dirReg
		.amdhsa_group_segment_fixed_size 0
		.amdhsa_private_segment_fixed_size 0
		.amdhsa_kernarg_size 88
		.amdhsa_user_sgpr_count 2
		.amdhsa_user_sgpr_dispatch_ptr 0
		.amdhsa_user_sgpr_queue_ptr 0
		.amdhsa_user_sgpr_kernarg_segment_ptr 1
		.amdhsa_user_sgpr_dispatch_id 0
		.amdhsa_user_sgpr_private_segment_size 0
		.amdhsa_wavefront_size32 1
		.amdhsa_uses_dynamic_stack 0
		.amdhsa_enable_private_segment 0
		.amdhsa_system_sgpr_workgroup_id_x 1
		.amdhsa_system_sgpr_workgroup_id_y 0
		.amdhsa_system_sgpr_workgroup_id_z 0
		.amdhsa_system_sgpr_workgroup_info 0
		.amdhsa_system_vgpr_workitem_id 0
		.amdhsa_next_free_vgpr 97
		.amdhsa_next_free_sgpr 35
		.amdhsa_reserve_vcc 1
		.amdhsa_float_round_mode_32 0
		.amdhsa_float_round_mode_16_64 0
		.amdhsa_float_denorm_mode_32 3
		.amdhsa_float_denorm_mode_16_64 3
		.amdhsa_fp16_overflow 0
		.amdhsa_workgroup_processor_mode 1
		.amdhsa_memory_ordered 1
		.amdhsa_forward_progress 0
		.amdhsa_round_robin_scheduling 0
		.amdhsa_exception_fp_ieee_invalid_op 0
		.amdhsa_exception_fp_denorm_src 0
		.amdhsa_exception_fp_ieee_div_zero 0
		.amdhsa_exception_fp_ieee_overflow 0
		.amdhsa_exception_fp_ieee_underflow 0
		.amdhsa_exception_fp_ieee_inexact 0
		.amdhsa_exception_int_div_zero 0
	.end_amdhsa_kernel
	.text
.Lfunc_end0:
	.size	fft_rtc_back_len200_factors_10_10_2_wgs_60_tpt_20_halfLds_dp_ip_CI_sbrr_dirReg, .Lfunc_end0-fft_rtc_back_len200_factors_10_10_2_wgs_60_tpt_20_halfLds_dp_ip_CI_sbrr_dirReg
                                        ; -- End function
	.section	.AMDGPU.csdata,"",@progbits
; Kernel info:
; codeLenInByte = 6656
; NumSgprs: 37
; NumVgprs: 97
; ScratchSize: 0
; MemoryBound: 1
; FloatMode: 240
; IeeeMode: 1
; LDSByteSize: 0 bytes/workgroup (compile time only)
; SGPRBlocks: 4
; VGPRBlocks: 12
; NumSGPRsForWavesPerEU: 37
; NumVGPRsForWavesPerEU: 97
; Occupancy: 12
; WaveLimiterHint : 1
; COMPUTE_PGM_RSRC2:SCRATCH_EN: 0
; COMPUTE_PGM_RSRC2:USER_SGPR: 2
; COMPUTE_PGM_RSRC2:TRAP_HANDLER: 0
; COMPUTE_PGM_RSRC2:TGID_X_EN: 1
; COMPUTE_PGM_RSRC2:TGID_Y_EN: 0
; COMPUTE_PGM_RSRC2:TGID_Z_EN: 0
; COMPUTE_PGM_RSRC2:TIDIG_COMP_CNT: 0
	.text
	.p2alignl 7, 3214868480
	.fill 96, 4, 3214868480
	.type	__hip_cuid_debe1bac01e4ec1c,@object ; @__hip_cuid_debe1bac01e4ec1c
	.section	.bss,"aw",@nobits
	.globl	__hip_cuid_debe1bac01e4ec1c
__hip_cuid_debe1bac01e4ec1c:
	.byte	0                               ; 0x0
	.size	__hip_cuid_debe1bac01e4ec1c, 1

	.ident	"AMD clang version 19.0.0git (https://github.com/RadeonOpenCompute/llvm-project roc-6.4.0 25133 c7fe45cf4b819c5991fe208aaa96edf142730f1d)"
	.section	".note.GNU-stack","",@progbits
	.addrsig
	.addrsig_sym __hip_cuid_debe1bac01e4ec1c
	.amdgpu_metadata
---
amdhsa.kernels:
  - .args:
      - .actual_access:  read_only
        .address_space:  global
        .offset:         0
        .size:           8
        .value_kind:     global_buffer
      - .offset:         8
        .size:           8
        .value_kind:     by_value
      - .actual_access:  read_only
        .address_space:  global
        .offset:         16
        .size:           8
        .value_kind:     global_buffer
      - .actual_access:  read_only
        .address_space:  global
        .offset:         24
        .size:           8
        .value_kind:     global_buffer
      - .offset:         32
        .size:           8
        .value_kind:     by_value
      - .actual_access:  read_only
        .address_space:  global
        .offset:         40
        .size:           8
        .value_kind:     global_buffer
      - .actual_access:  read_only
        .address_space:  global
        .offset:         48
        .size:           8
        .value_kind:     global_buffer
      - .offset:         56
        .size:           4
        .value_kind:     by_value
      - .actual_access:  read_only
        .address_space:  global
        .offset:         64
        .size:           8
        .value_kind:     global_buffer
      - .actual_access:  read_only
        .address_space:  global
        .offset:         72
        .size:           8
        .value_kind:     global_buffer
      - .address_space:  global
        .offset:         80
        .size:           8
        .value_kind:     global_buffer
    .group_segment_fixed_size: 0
    .kernarg_segment_align: 8
    .kernarg_segment_size: 88
    .language:       OpenCL C
    .language_version:
      - 2
      - 0
    .max_flat_workgroup_size: 60
    .name:           fft_rtc_back_len200_factors_10_10_2_wgs_60_tpt_20_halfLds_dp_ip_CI_sbrr_dirReg
    .private_segment_fixed_size: 0
    .sgpr_count:     37
    .sgpr_spill_count: 0
    .symbol:         fft_rtc_back_len200_factors_10_10_2_wgs_60_tpt_20_halfLds_dp_ip_CI_sbrr_dirReg.kd
    .uniform_work_group_size: 1
    .uses_dynamic_stack: false
    .vgpr_count:     97
    .vgpr_spill_count: 0
    .wavefront_size: 32
    .workgroup_processor_mode: 1
amdhsa.target:   amdgcn-amd-amdhsa--gfx1201
amdhsa.version:
  - 1
  - 2
...

	.end_amdgpu_metadata
